;; amdgpu-corpus repo=ROCm/rocFFT kind=compiled arch=gfx906 opt=O3
	.text
	.amdgcn_target "amdgcn-amd-amdhsa--gfx906"
	.amdhsa_code_object_version 6
	.protected	fft_rtc_back_len640_factors_8_10_8_wgs_128_tpt_64_halfLds_dp_ip_CI_sbrr_dirReg ; -- Begin function fft_rtc_back_len640_factors_8_10_8_wgs_128_tpt_64_halfLds_dp_ip_CI_sbrr_dirReg
	.globl	fft_rtc_back_len640_factors_8_10_8_wgs_128_tpt_64_halfLds_dp_ip_CI_sbrr_dirReg
	.p2align	8
	.type	fft_rtc_back_len640_factors_8_10_8_wgs_128_tpt_64_halfLds_dp_ip_CI_sbrr_dirReg,@function
fft_rtc_back_len640_factors_8_10_8_wgs_128_tpt_64_halfLds_dp_ip_CI_sbrr_dirReg: ; @fft_rtc_back_len640_factors_8_10_8_wgs_128_tpt_64_halfLds_dp_ip_CI_sbrr_dirReg
; %bb.0:
	s_load_dwordx2 s[14:15], s[4:5], 0x18
	s_load_dwordx4 s[8:11], s[4:5], 0x0
	s_load_dwordx2 s[12:13], s[4:5], 0x50
	v_lshrrev_b32_e32 v1, 6, v0
	v_lshl_or_b32 v5, s6, 1, v1
	s_waitcnt lgkmcnt(0)
	s_load_dwordx2 s[2:3], s[14:15], 0x0
	v_cmp_lt_u64_e64 s[0:1], s[10:11], 2
	v_mov_b32_e32 v3, 0
	v_mov_b32_e32 v1, 0
	;; [unrolled: 1-line block ×3, first 2 shown]
	s_and_b64 vcc, exec, s[0:1]
	v_mov_b32_e32 v2, 0
	s_cbranch_vccnz .LBB0_8
; %bb.1:
	s_load_dwordx2 s[0:1], s[4:5], 0x10
	s_add_u32 s6, s14, 8
	s_addc_u32 s7, s15, 0
	v_mov_b32_e32 v1, 0
	v_mov_b32_e32 v2, 0
	s_waitcnt lgkmcnt(0)
	s_add_u32 s16, s0, 8
	s_addc_u32 s17, s1, 0
	s_mov_b64 s[18:19], 1
.LBB0_2:                                ; =>This Inner Loop Header: Depth=1
	s_load_dwordx2 s[20:21], s[16:17], 0x0
                                        ; implicit-def: $vgpr7_vgpr8
	s_waitcnt lgkmcnt(0)
	v_or_b32_e32 v4, s21, v6
	v_cmp_ne_u64_e32 vcc, 0, v[3:4]
	s_and_saveexec_b64 s[0:1], vcc
	s_xor_b64 s[22:23], exec, s[0:1]
	s_cbranch_execz .LBB0_4
; %bb.3:                                ;   in Loop: Header=BB0_2 Depth=1
	v_cvt_f32_u32_e32 v4, s20
	v_cvt_f32_u32_e32 v7, s21
	s_sub_u32 s0, 0, s20
	s_subb_u32 s1, 0, s21
	v_mac_f32_e32 v4, 0x4f800000, v7
	v_rcp_f32_e32 v4, v4
	v_mul_f32_e32 v4, 0x5f7ffffc, v4
	v_mul_f32_e32 v7, 0x2f800000, v4
	v_trunc_f32_e32 v7, v7
	v_mac_f32_e32 v4, 0xcf800000, v7
	v_cvt_u32_f32_e32 v7, v7
	v_cvt_u32_f32_e32 v4, v4
	v_mul_lo_u32 v8, s0, v7
	v_mul_hi_u32 v9, s0, v4
	v_mul_lo_u32 v11, s1, v4
	v_mul_lo_u32 v10, s0, v4
	v_add_u32_e32 v8, v9, v8
	v_add_u32_e32 v8, v8, v11
	v_mul_hi_u32 v9, v4, v10
	v_mul_lo_u32 v11, v4, v8
	v_mul_hi_u32 v13, v4, v8
	v_mul_hi_u32 v12, v7, v10
	v_mul_lo_u32 v10, v7, v10
	v_mul_hi_u32 v14, v7, v8
	v_add_co_u32_e32 v9, vcc, v9, v11
	v_addc_co_u32_e32 v11, vcc, 0, v13, vcc
	v_mul_lo_u32 v8, v7, v8
	v_add_co_u32_e32 v9, vcc, v9, v10
	v_addc_co_u32_e32 v9, vcc, v11, v12, vcc
	v_addc_co_u32_e32 v10, vcc, 0, v14, vcc
	v_add_co_u32_e32 v8, vcc, v9, v8
	v_addc_co_u32_e32 v9, vcc, 0, v10, vcc
	v_add_co_u32_e32 v4, vcc, v4, v8
	v_addc_co_u32_e32 v7, vcc, v7, v9, vcc
	v_mul_lo_u32 v8, s0, v7
	v_mul_hi_u32 v9, s0, v4
	v_mul_lo_u32 v10, s1, v4
	v_mul_lo_u32 v11, s0, v4
	v_add_u32_e32 v8, v9, v8
	v_add_u32_e32 v8, v8, v10
	v_mul_lo_u32 v12, v4, v8
	v_mul_hi_u32 v13, v4, v11
	v_mul_hi_u32 v14, v4, v8
	;; [unrolled: 1-line block ×3, first 2 shown]
	v_mul_lo_u32 v11, v7, v11
	v_mul_hi_u32 v9, v7, v8
	v_add_co_u32_e32 v12, vcc, v13, v12
	v_addc_co_u32_e32 v13, vcc, 0, v14, vcc
	v_mul_lo_u32 v8, v7, v8
	v_add_co_u32_e32 v11, vcc, v12, v11
	v_addc_co_u32_e32 v10, vcc, v13, v10, vcc
	v_addc_co_u32_e32 v9, vcc, 0, v9, vcc
	v_add_co_u32_e32 v8, vcc, v10, v8
	v_addc_co_u32_e32 v9, vcc, 0, v9, vcc
	v_add_co_u32_e32 v4, vcc, v4, v8
	v_addc_co_u32_e32 v9, vcc, v7, v9, vcc
	v_mad_u64_u32 v[7:8], s[0:1], v5, v9, 0
	v_mul_hi_u32 v10, v5, v4
	v_add_co_u32_e32 v11, vcc, v10, v7
	v_addc_co_u32_e32 v12, vcc, 0, v8, vcc
	v_mad_u64_u32 v[7:8], s[0:1], v6, v4, 0
	v_mad_u64_u32 v[9:10], s[0:1], v6, v9, 0
	v_add_co_u32_e32 v4, vcc, v11, v7
	v_addc_co_u32_e32 v4, vcc, v12, v8, vcc
	v_addc_co_u32_e32 v7, vcc, 0, v10, vcc
	v_add_co_u32_e32 v4, vcc, v4, v9
	v_addc_co_u32_e32 v9, vcc, 0, v7, vcc
	v_mul_lo_u32 v10, s21, v4
	v_mul_lo_u32 v11, s20, v9
	v_mad_u64_u32 v[7:8], s[0:1], s20, v4, 0
	v_add3_u32 v8, v8, v11, v10
	v_sub_u32_e32 v10, v6, v8
	v_mov_b32_e32 v11, s21
	v_sub_co_u32_e32 v7, vcc, v5, v7
	v_subb_co_u32_e64 v10, s[0:1], v10, v11, vcc
	v_subrev_co_u32_e64 v11, s[0:1], s20, v7
	v_subbrev_co_u32_e64 v10, s[0:1], 0, v10, s[0:1]
	v_cmp_le_u32_e64 s[0:1], s21, v10
	v_cndmask_b32_e64 v12, 0, -1, s[0:1]
	v_cmp_le_u32_e64 s[0:1], s20, v11
	v_cndmask_b32_e64 v11, 0, -1, s[0:1]
	v_cmp_eq_u32_e64 s[0:1], s21, v10
	v_cndmask_b32_e64 v10, v12, v11, s[0:1]
	v_add_co_u32_e64 v11, s[0:1], 2, v4
	v_addc_co_u32_e64 v12, s[0:1], 0, v9, s[0:1]
	v_add_co_u32_e64 v13, s[0:1], 1, v4
	v_addc_co_u32_e64 v14, s[0:1], 0, v9, s[0:1]
	v_subb_co_u32_e32 v8, vcc, v6, v8, vcc
	v_cmp_ne_u32_e64 s[0:1], 0, v10
	v_cmp_le_u32_e32 vcc, s21, v8
	v_cndmask_b32_e64 v10, v14, v12, s[0:1]
	v_cndmask_b32_e64 v12, 0, -1, vcc
	v_cmp_le_u32_e32 vcc, s20, v7
	v_cndmask_b32_e64 v7, 0, -1, vcc
	v_cmp_eq_u32_e32 vcc, s21, v8
	v_cndmask_b32_e32 v7, v12, v7, vcc
	v_cmp_ne_u32_e32 vcc, 0, v7
	v_cndmask_b32_e64 v7, v13, v11, s[0:1]
	v_cndmask_b32_e32 v8, v9, v10, vcc
	v_cndmask_b32_e32 v7, v4, v7, vcc
.LBB0_4:                                ;   in Loop: Header=BB0_2 Depth=1
	s_andn2_saveexec_b64 s[0:1], s[22:23]
	s_cbranch_execz .LBB0_6
; %bb.5:                                ;   in Loop: Header=BB0_2 Depth=1
	v_cvt_f32_u32_e32 v4, s20
	s_sub_i32 s22, 0, s20
	v_rcp_iflag_f32_e32 v4, v4
	v_mul_f32_e32 v4, 0x4f7ffffe, v4
	v_cvt_u32_f32_e32 v4, v4
	v_mul_lo_u32 v7, s22, v4
	v_mul_hi_u32 v7, v4, v7
	v_add_u32_e32 v4, v4, v7
	v_mul_hi_u32 v4, v5, v4
	v_mul_lo_u32 v7, v4, s20
	v_add_u32_e32 v8, 1, v4
	v_sub_u32_e32 v7, v5, v7
	v_subrev_u32_e32 v9, s20, v7
	v_cmp_le_u32_e32 vcc, s20, v7
	v_cndmask_b32_e32 v7, v7, v9, vcc
	v_cndmask_b32_e32 v4, v4, v8, vcc
	v_add_u32_e32 v8, 1, v4
	v_cmp_le_u32_e32 vcc, s20, v7
	v_cndmask_b32_e32 v7, v4, v8, vcc
	v_mov_b32_e32 v8, v3
.LBB0_6:                                ;   in Loop: Header=BB0_2 Depth=1
	s_or_b64 exec, exec, s[0:1]
	v_mul_lo_u32 v4, v8, s20
	v_mul_lo_u32 v11, v7, s21
	v_mad_u64_u32 v[9:10], s[0:1], v7, s20, 0
	s_load_dwordx2 s[0:1], s[6:7], 0x0
	s_add_u32 s18, s18, 1
	v_add3_u32 v4, v10, v11, v4
	v_sub_co_u32_e32 v5, vcc, v5, v9
	v_subb_co_u32_e32 v4, vcc, v6, v4, vcc
	s_waitcnt lgkmcnt(0)
	v_mul_lo_u32 v4, s0, v4
	v_mul_lo_u32 v6, s1, v5
	v_mad_u64_u32 v[1:2], s[0:1], s0, v5, v[1:2]
	s_addc_u32 s19, s19, 0
	s_add_u32 s6, s6, 8
	v_add3_u32 v2, v6, v2, v4
	v_mov_b32_e32 v4, s10
	v_mov_b32_e32 v5, s11
	s_addc_u32 s7, s7, 0
	v_cmp_ge_u64_e32 vcc, s[18:19], v[4:5]
	s_add_u32 s16, s16, 8
	s_addc_u32 s17, s17, 0
	s_cbranch_vccnz .LBB0_9
; %bb.7:                                ;   in Loop: Header=BB0_2 Depth=1
	v_mov_b32_e32 v5, v7
	v_mov_b32_e32 v6, v8
	s_branch .LBB0_2
.LBB0_8:
	v_mov_b32_e32 v8, v6
	v_mov_b32_e32 v7, v5
.LBB0_9:
	s_lshl_b64 s[0:1], s[10:11], 3
	s_add_u32 s0, s14, s0
	s_addc_u32 s1, s15, s1
	s_load_dwordx2 s[6:7], s[0:1], 0x0
	s_load_dwordx2 s[10:11], s[4:5], 0x20
	v_and_b32_e32 v93, 63, v0
	v_or_b32_e32 v94, 64, v93
                                        ; implicit-def: $vgpr95
	s_waitcnt lgkmcnt(0)
	v_mul_lo_u32 v3, s6, v8
	v_mul_lo_u32 v4, s7, v7
	v_mad_u64_u32 v[1:2], s[0:1], s6, v7, v[1:2]
	v_cmp_gt_u64_e32 vcc, s[10:11], v[7:8]
	v_cmp_le_u64_e64 s[0:1], s[10:11], v[7:8]
	v_add3_u32 v2, v4, v2, v3
	s_and_saveexec_b64 s[4:5], s[0:1]
	s_xor_b64 s[0:1], exec, s[4:5]
; %bb.10:
	v_or_b32_e32 v95, 64, v93
; %bb.11:
	s_or_saveexec_b64 s[4:5], s[0:1]
	v_lshlrev_b64 v[67:68], 4, v[1:2]
                                        ; implicit-def: $vgpr3_vgpr4
                                        ; implicit-def: $vgpr7_vgpr8
                                        ; implicit-def: $vgpr21_vgpr22
                                        ; implicit-def: $vgpr49_vgpr50
                                        ; implicit-def: $vgpr37_vgpr38
                                        ; implicit-def: $vgpr41_vgpr42
                                        ; implicit-def: $vgpr33_vgpr34
                                        ; implicit-def: $vgpr61_vgpr62
                                        ; implicit-def: $vgpr65_vgpr66
                                        ; implicit-def: $vgpr57_vgpr58
                                        ; implicit-def: $vgpr29_vgpr30
                                        ; implicit-def: $vgpr25_vgpr26
                                        ; implicit-def: $vgpr53_vgpr54
                                        ; implicit-def: $vgpr45_vgpr46
                                        ; implicit-def: $vgpr17_vgpr18
                                        ; implicit-def: $vgpr13_vgpr14
	s_xor_b64 exec, exec, s[4:5]
	s_cbranch_execz .LBB0_15
; %bb.12:
	v_mad_u64_u32 v[1:2], s[0:1], s2, v93, 0
	v_add_u32_e32 v6, 0x50, v93
	v_mov_b32_e32 v5, s13
	v_mad_u64_u32 v[2:3], s[0:1], s3, v93, v[2:3]
	v_mad_u64_u32 v[3:4], s[0:1], s2, v6, 0
	v_add_co_u32_e64 v9, s[0:1], s12, v67
	v_addc_co_u32_e64 v10, s[0:1], v5, v68, s[0:1]
	v_mad_u64_u32 v[4:5], s[0:1], s3, v6, v[4:5]
	v_lshlrev_b64 v[1:2], 4, v[1:2]
	v_add_u32_e32 v20, 0xf0, v93
	v_add_co_u32_e64 v5, s[0:1], v9, v1
	v_addc_co_u32_e64 v6, s[0:1], v10, v2, s[0:1]
	v_lshlrev_b64 v[1:2], 4, v[3:4]
	v_add_u32_e32 v3, 0xa0, v93
	v_mad_u64_u32 v[7:8], s[0:1], s2, v3, 0
	v_add_co_u32_e64 v15, s[0:1], v9, v1
	v_mov_b32_e32 v1, v8
	v_addc_co_u32_e64 v16, s[0:1], v10, v2, s[0:1]
	v_mad_u64_u32 v[17:18], s[0:1], s3, v3, v[1:2]
	v_mad_u64_u32 v[18:19], s[0:1], s2, v20, 0
	v_mov_b32_e32 v8, v17
	global_load_dwordx4 v[11:14], v[5:6], off
	global_load_dwordx4 v[1:4], v[15:16], off
	v_lshlrev_b64 v[5:6], 4, v[7:8]
	v_mov_b32_e32 v7, v19
	v_mad_u64_u32 v[7:8], s[0:1], s3, v20, v[7:8]
	v_add_co_u32_e64 v20, s[0:1], v9, v5
	v_mov_b32_e32 v19, v7
	v_or_b32_e32 v7, 0x140, v93
	v_addc_co_u32_e64 v21, s[0:1], v10, v6, s[0:1]
	v_mad_u64_u32 v[22:23], s[0:1], s2, v7, 0
	v_lshlrev_b64 v[5:6], 4, v[18:19]
	v_add_u32_e32 v29, 0x190, v93
	v_add_co_u32_e64 v24, s[0:1], v9, v5
	v_mov_b32_e32 v5, v23
	v_addc_co_u32_e64 v25, s[0:1], v10, v6, s[0:1]
	v_mad_u64_u32 v[26:27], s[0:1], s3, v7, v[5:6]
	v_mad_u64_u32 v[27:28], s[0:1], s2, v29, 0
	global_load_dwordx4 v[15:18], v[20:21], off
	global_load_dwordx4 v[5:8], v[24:25], off
	v_mov_b32_e32 v23, v26
	v_mov_b32_e32 v21, v28
	v_lshlrev_b64 v[19:20], 4, v[22:23]
	v_mad_u64_u32 v[21:22], s[0:1], s3, v29, v[21:22]
	v_add_u32_e32 v26, 0x1e0, v93
	v_mad_u64_u32 v[22:23], s[0:1], s2, v26, 0
	v_add_co_u32_e64 v24, s[0:1], v9, v19
	v_mov_b32_e32 v28, v21
	v_mov_b32_e32 v21, v23
	v_addc_co_u32_e64 v25, s[0:1], v10, v20, s[0:1]
	v_lshlrev_b64 v[19:20], 4, v[27:28]
	v_mad_u64_u32 v[26:27], s[0:1], s3, v26, v[21:22]
	v_add_u32_e32 v31, 0x230, v93
	v_mad_u64_u32 v[27:28], s[0:1], s2, v31, 0
	v_add_co_u32_e64 v29, s[0:1], v9, v19
	v_mov_b32_e32 v21, v28
	v_addc_co_u32_e64 v30, s[0:1], v10, v20, s[0:1]
	v_mad_u64_u32 v[31:32], s[0:1], s3, v31, v[21:22]
	v_mov_b32_e32 v23, v26
	v_lshlrev_b64 v[19:20], 4, v[22:23]
	v_mov_b32_e32 v28, v31
	v_add_co_u32_e64 v32, s[0:1], v9, v19
	v_addc_co_u32_e64 v33, s[0:1], v10, v20, s[0:1]
	global_load_dwordx4 v[19:22], v[24:25], off
	global_load_dwordx4 v[43:46], v[29:30], off
	v_lshlrev_b64 v[23:24], 4, v[27:28]
                                        ; implicit-def: $vgpr27_vgpr28
                                        ; implicit-def: $vgpr55_vgpr56
                                        ; implicit-def: $vgpr63_vgpr64
                                        ; implicit-def: $vgpr59_vgpr60
                                        ; implicit-def: $vgpr39_vgpr40
                                        ; implicit-def: $vgpr35_vgpr36
	v_add_co_u32_e64 v23, s[0:1], v9, v23
	v_addc_co_u32_e64 v24, s[0:1], v10, v24, s[0:1]
	global_load_dwordx4 v[47:50], v[32:33], off
	global_load_dwordx4 v[51:54], v[23:24], off
	s_movk_i32 s0, 0x50
	v_cmp_gt_u32_e64 s[0:1], s0, v94
                                        ; implicit-def: $vgpr23_vgpr24
                                        ; implicit-def: $vgpr31_vgpr32
	s_and_saveexec_b64 s[6:7], s[0:1]
	s_cbranch_execz .LBB0_14
; %bb.13:
	v_add_u32_e32 v29, 0x90, v93
	v_mad_u64_u32 v[23:24], s[0:1], s2, v94, 0
	v_mad_u64_u32 v[25:26], s[0:1], s2, v29, 0
	v_add_u32_e32 v60, 0x1d0, v93
	v_add_u32_e32 v66, 0x270, v93
	v_mad_u64_u32 v[27:28], s[0:1], s3, v94, v[24:25]
	v_mov_b32_e32 v24, v27
	v_mad_u64_u32 v[26:27], s[0:1], s3, v29, v[26:27]
	v_lshlrev_b64 v[23:24], 4, v[23:24]
	v_add_co_u32_e64 v27, s[0:1], v9, v23
	v_addc_co_u32_e64 v28, s[0:1], v10, v24, s[0:1]
	v_lshlrev_b64 v[23:24], 4, v[25:26]
	v_add_u32_e32 v25, 0xe0, v93
	v_mad_u64_u32 v[29:30], s[0:1], s2, v25, 0
	v_add_co_u32_e64 v31, s[0:1], v9, v23
	v_mov_b32_e32 v23, v30
	v_addc_co_u32_e64 v32, s[0:1], v10, v24, s[0:1]
	v_mad_u64_u32 v[33:34], s[0:1], s3, v25, v[23:24]
	v_add_u32_e32 v34, 0x130, v93
	v_mad_u64_u32 v[39:40], s[0:1], s2, v34, 0
	v_mov_b32_e32 v30, v33
	global_load_dwordx4 v[23:26], v[27:28], off
	global_load_dwordx4 v[35:38], v[31:32], off
	v_lshlrev_b64 v[27:28], 4, v[29:30]
	v_mov_b32_e32 v29, v40
	v_mad_u64_u32 v[29:30], s[0:1], s3, v34, v[29:30]
	v_add_co_u32_e64 v31, s[0:1], v9, v27
	v_mov_b32_e32 v40, v29
	v_or_b32_e32 v29, 0x180, v93
	v_addc_co_u32_e64 v32, s[0:1], v10, v28, s[0:1]
	v_mad_u64_u32 v[33:34], s[0:1], s2, v29, 0
	v_lshlrev_b64 v[27:28], 4, v[39:40]
	v_add_co_u32_e64 v55, s[0:1], v9, v27
	v_mov_b32_e32 v27, v34
	v_addc_co_u32_e64 v56, s[0:1], v10, v28, s[0:1]
	v_mad_u64_u32 v[57:58], s[0:1], s3, v29, v[27:28]
	v_mad_u64_u32 v[58:59], s[0:1], s2, v60, 0
	v_mov_b32_e32 v34, v57
	global_load_dwordx4 v[27:30], v[31:32], off
	global_load_dwordx4 v[39:42], v[55:56], off
	v_lshlrev_b64 v[31:32], 4, v[33:34]
	v_mov_b32_e32 v33, v59
	v_mad_u64_u32 v[33:34], s[0:1], s3, v60, v[33:34]
	v_add_co_u32_e64 v60, s[0:1], v9, v31
	v_mov_b32_e32 v59, v33
	v_add_u32_e32 v33, 0x220, v93
	v_addc_co_u32_e64 v61, s[0:1], v10, v32, s[0:1]
	v_mad_u64_u32 v[62:63], s[0:1], s2, v33, 0
	v_lshlrev_b64 v[31:32], 4, v[58:59]
	v_add_co_u32_e64 v64, s[0:1], v9, v31
	v_mov_b32_e32 v31, v63
	v_addc_co_u32_e64 v65, s[0:1], v10, v32, s[0:1]
	v_mad_u64_u32 v[69:70], s[0:1], s3, v33, v[31:32]
	v_mad_u64_u32 v[70:71], s[0:1], s2, v66, 0
	global_load_dwordx4 v[31:34], v[60:61], off
	global_load_dwordx4 v[55:58], v[64:65], off
	v_mov_b32_e32 v63, v69
	v_mov_b32_e32 v61, v71
	v_lshlrev_b64 v[59:60], 4, v[62:63]
	v_mad_u64_u32 v[61:62], s[0:1], s3, v66, v[61:62]
	v_add_co_u32_e64 v72, s[0:1], v9, v59
	v_mov_b32_e32 v71, v61
	v_addc_co_u32_e64 v73, s[0:1], v10, v60, s[0:1]
	v_lshlrev_b64 v[59:60], 4, v[70:71]
	v_add_co_u32_e64 v9, s[0:1], v9, v59
	v_addc_co_u32_e64 v10, s[0:1], v10, v60, s[0:1]
	global_load_dwordx4 v[59:62], v[72:73], off
	global_load_dwordx4 v[63:66], v[9:10], off
.LBB0_14:
	s_or_b64 exec, exec, s[6:7]
	v_mov_b32_e32 v95, v94
.LBB0_15:
	s_or_b64 exec, exec, s[4:5]
	s_waitcnt vmcnt(3)
	v_add_f64 v[9:10], v[11:12], -v[19:20]
	s_waitcnt vmcnt(1)
	v_add_f64 v[19:20], v[15:16], -v[47:48]
	v_add_f64 v[73:74], v[3:4], -v[45:46]
	v_add_f64 v[45:46], v[17:18], -v[49:50]
	s_waitcnt vmcnt(0)
	v_add_f64 v[47:48], v[7:8], -v[53:54]
	v_add_f64 v[49:50], v[1:2], -v[43:44]
	;; [unrolled: 1-line block ×3, first 2 shown]
	s_mov_b32 s4, 0x667f3bcd
	v_fma_f64 v[11:12], v[11:12], 2.0, -v[9:10]
	v_fma_f64 v[43:44], v[15:16], 2.0, -v[19:20]
	;; [unrolled: 1-line block ×3, first 2 shown]
	v_add_f64 v[3:4], v[45:46], v[9:10]
	v_fma_f64 v[7:8], v[7:8], 2.0, -v[47:48]
	v_add_f64 v[53:54], v[47:48], v[49:50]
	s_mov_b32 s5, 0x3fe6a09e
	v_add_f64 v[85:86], v[73:74], -v[51:52]
	v_fma_f64 v[5:6], v[5:6], 2.0, -v[51:52]
	v_add_f64 v[77:78], v[11:12], -v[43:44]
	v_fma_f64 v[1:2], v[1:2], 2.0, -v[49:50]
	v_add_f64 v[57:58], v[37:38], -v[57:58]
	v_add_f64 v[43:44], v[15:16], -v[7:8]
	v_fma_f64 v[7:8], v[53:54], s[4:5], v[3:4]
	v_fma_f64 v[51:52], v[49:50], 2.0, -v[53:54]
	v_add_f64 v[49:50], v[29:30], -v[61:62]
	s_mov_b32 s1, 0xbfe6a09e
	s_mov_b32 s0, s4
	v_add_f64 v[47:48], v[1:2], -v[5:6]
	v_add_f64 v[5:6], v[35:36], -v[55:56]
	v_add_f64 v[55:56], v[41:42], -v[65:66]
	v_fma_f64 v[71:72], v[85:86], s[4:5], v[7:8]
	v_fma_f64 v[7:8], v[9:10], 2.0, -v[3:4]
	v_add_f64 v[9:10], v[39:40], -v[63:64]
	v_add_f64 v[69:70], v[43:44], v[77:78]
	v_fma_f64 v[87:88], v[73:74], 2.0, -v[85:86]
	v_fma_f64 v[11:12], v[11:12], 2.0, -v[77:78]
	;; [unrolled: 1-line block ×3, first 2 shown]
	v_add_f64 v[91:92], v[55:56], v[5:6]
	v_fma_f64 v[75:76], v[3:4], 2.0, -v[71:72]
	v_add_f64 v[3:4], v[23:24], -v[31:32]
	v_add_f64 v[31:32], v[27:28], -v[59:60]
	v_fma_f64 v[39:40], v[39:40], 2.0, -v[9:10]
	v_fma_f64 v[1:2], v[1:2], 2.0, -v[47:48]
	v_add_f64 v[96:97], v[57:58], -v[9:10]
	v_fma_f64 v[73:74], v[77:78], 2.0, -v[69:70]
	v_fma_f64 v[98:99], v[5:6], 2.0, -v[91:92]
	v_and_b32_e32 v81, 64, v0
	v_fma_f64 v[63:64], v[23:24], 2.0, -v[3:4]
	v_fma_f64 v[23:24], v[27:28], 2.0, -v[31:32]
	v_add_f64 v[89:90], v[49:50], v[3:4]
	v_fma_f64 v[27:28], v[37:38], 2.0, -v[57:58]
	v_fma_f64 v[37:38], v[41:42], 2.0, -v[55:56]
	v_fma_f64 v[41:42], v[51:52], s[0:1], v[7:8]
	v_add_f64 v[77:78], v[11:12], -v[1:2]
	v_mov_b32_e32 v82, 0x280
	v_lshl_add_u32 v66, v93, 6, 0
	v_add_f64 v[55:56], v[63:64], -v[23:24]
	v_add_f64 v[23:24], v[35:36], -v[39:40]
	v_fma_f64 v[61:62], v[3:4], 2.0, -v[89:90]
	v_fma_f64 v[3:4], v[91:92], s[4:5], v[89:90]
	v_add_f64 v[59:60], v[27:28], -v[37:38]
	v_fma_f64 v[79:80], v[87:88], s[4:5], v[41:42]
	v_fma_f64 v[41:42], v[57:58], 2.0, -v[96:97]
	v_mul_f64 v[39:40], v[53:54], s[4:5]
	v_fma_f64 v[63:64], v[63:64], 2.0, -v[55:56]
	v_fma_f64 v[5:6], v[35:36], 2.0, -v[23:24]
	v_fma_f64 v[9:10], v[98:99], s[0:1], v[61:62]
	v_fma_f64 v[3:4], v[96:97], s[4:5], v[3:4]
	v_add_f64 v[1:2], v[59:60], v[55:56]
	v_cmp_ne_u32_e64 s[0:1], 0, v81
	v_cndmask_b32_e64 v100, 0, v82, s[0:1]
	v_fma_f64 v[81:82], v[11:12], 2.0, -v[77:78]
	v_fma_f64 v[83:84], v[7:8], 2.0, -v[79:80]
	v_add_f64 v[5:6], v[63:64], -v[5:6]
	v_fma_f64 v[7:8], v[41:42], s[4:5], v[9:10]
	v_fma_f64 v[11:12], v[89:90], 2.0, -v[3:4]
	v_fma_f64 v[9:10], v[55:56], 2.0, -v[1:2]
	v_mul_f64 v[35:36], v[51:52], s[4:5]
	v_mul_f64 v[51:52], v[87:88], s[4:5]
	;; [unrolled: 1-line block ×7, first 2 shown]
	v_lshl_add_u32 v65, v100, 3, v66
	ds_write_b128 v65, v[73:76] offset:16
	ds_write_b128 v65, v[81:84]
	ds_write_b128 v65, v[77:80] offset:32
	ds_write_b128 v65, v[69:72] offset:48
	v_cmp_gt_u32_e64 s[0:1], 16, v93
	v_lshlrev_b32_e32 v71, 3, v100
	s_and_saveexec_b64 s[4:5], s[0:1]
	s_cbranch_execz .LBB0_17
; %bb.16:
	v_fma_f64 v[74:75], v[61:62], 2.0, -v[7:8]
	v_fma_f64 v[72:73], v[63:64], 2.0, -v[5:6]
	v_lshlrev_b32_e32 v61, 6, v95
	v_add3_u32 v61, 0, v61, v71
	ds_write_b128 v61, v[9:12] offset:16
	ds_write_b128 v61, v[5:8] offset:32
	ds_write_b128 v61, v[72:75]
	ds_write_b128 v61, v[1:4] offset:48
.LBB0_17:
	s_or_b64 exec, exec, s[4:5]
	v_add_f64 v[21:22], v[13:14], -v[21:22]
	v_fma_f64 v[17:18], v[17:18], 2.0, -v[45:46]
	v_fma_f64 v[61:62], v[15:16], 2.0, -v[43:44]
	v_add_f64 v[15:16], v[25:26], -v[33:34]
	v_fma_f64 v[29:30], v[29:30], 2.0, -v[49:50]
	v_lshlrev_b32_e32 v43, 3, v93
	v_add3_u32 v98, 0, v71, v43
	v_fma_f64 v[27:28], v[27:28], 2.0, -v[59:60]
	v_fma_f64 v[13:14], v[13:14], 2.0, -v[21:22]
	v_add_f64 v[19:20], v[21:22], -v[19:20]
	v_lshl_add_u32 v49, v95, 3, 0
	v_fma_f64 v[25:26], v[25:26], 2.0, -v[15:16]
	v_add_f64 v[31:32], v[15:16], -v[31:32]
	s_waitcnt lgkmcnt(0)
	s_barrier
	v_add_f64 v[17:18], v[13:14], -v[17:18]
	v_fma_f64 v[33:34], v[21:22], 2.0, -v[19:20]
	v_add_f64 v[21:22], v[55:56], v[19:20]
	v_add_f64 v[29:30], v[25:26], -v[29:30]
	v_fma_f64 v[43:44], v[15:16], 2.0, -v[31:32]
	v_add_f64 v[15:16], v[57:58], v[31:32]
	v_add_u32_e32 v96, v49, v71
	v_fma_f64 v[55:56], v[13:14], 2.0, -v[17:18]
	v_add_f64 v[63:64], v[33:34], -v[51:52]
	v_add_f64 v[57:58], v[17:18], -v[47:48]
	v_add_f64 v[59:60], v[21:22], -v[39:40]
	v_fma_f64 v[45:46], v[25:26], 2.0, -v[29:30]
	v_add_f64 v[21:22], v[43:44], -v[53:54]
	v_add_f64 v[13:14], v[29:30], -v[23:24]
	;; [unrolled: 1-line block ×5, first 2 shown]
	v_mul_i32_i24_e32 v25, 0xffffffc8, v93
	v_fma_f64 v[61:62], v[17:18], 2.0, -v[57:58]
	v_fma_f64 v[63:64], v[19:20], 2.0, -v[59:60]
	v_add_f64 v[17:18], v[45:46], -v[27:28]
	v_add_f64 v[19:20], v[21:22], -v[37:38]
	v_fma_f64 v[21:22], v[29:30], 2.0, -v[13:14]
	v_fma_f64 v[23:24], v[31:32], 2.0, -v[15:16]
	;; [unrolled: 1-line block ×4, first 2 shown]
	v_add3_u32 v97, v66, v25, v71
	ds_read_b64 v[41:42], v98
	ds_read_b64 v[55:56], v96
	ds_read2st64_b64 v[37:40], v97 offset0:2 offset1:3
	ds_read2st64_b64 v[33:36], v97 offset0:4 offset1:5
	;; [unrolled: 1-line block ×4, first 2 shown]
	s_waitcnt lgkmcnt(0)
	s_barrier
	ds_write_b128 v65, v[72:75]
	ds_write_b128 v65, v[61:64] offset:16
	ds_write_b128 v65, v[50:53] offset:32
	ds_write_b128 v65, v[57:60] offset:48
	s_and_saveexec_b64 s[4:5], s[0:1]
	s_cbranch_execz .LBB0_19
; %bb.18:
	v_fma_f64 v[45:46], v[45:46], 2.0, -v[17:18]
	v_fma_f64 v[47:48], v[43:44], 2.0, -v[19:20]
	v_mul_i32_i24_e32 v43, 56, v95
	v_add3_u32 v43, v49, v43, v71
	ds_write_b128 v43, v[21:24] offset:16
	ds_write_b128 v43, v[17:20] offset:32
	ds_write_b128 v43, v[45:48]
	ds_write_b128 v43, v[13:16] offset:48
.LBB0_19:
	s_or_b64 exec, exec, s[4:5]
	v_and_b32_e32 v0, 7, v0
	v_mul_u32_u24_e32 v43, 9, v0
	v_lshlrev_b32_e32 v47, 4, v43
	s_waitcnt lgkmcnt(0)
	s_barrier
	global_load_dwordx4 v[43:46], v47, s[8:9] offset:16
	global_load_dwordx4 v[49:52], v47, s[8:9] offset:32
	;; [unrolled: 1-line block ×4, first 2 shown]
	global_load_dwordx4 v[72:75], v47, s[8:9]
	global_load_dwordx4 v[76:79], v47, s[8:9] offset:80
	global_load_dwordx4 v[80:83], v47, s[8:9] offset:96
	;; [unrolled: 1-line block ×4, first 2 shown]
	ds_read2st64_b64 v[99:102], v97 offset0:2 offset1:3
	s_mov_b32 s10, 0x134454ff
	s_mov_b32 s11, 0xbfee6f0e
	;; [unrolled: 1-line block ×14, first 2 shown]
	s_waitcnt vmcnt(8) lgkmcnt(0)
	v_mul_f64 v[47:48], v[99:100], v[45:46]
	v_mul_f64 v[45:46], v[37:38], v[45:46]
	s_waitcnt vmcnt(7)
	v_mul_f64 v[53:54], v[101:102], v[51:52]
	s_waitcnt vmcnt(3)
	v_mul_f64 v[69:70], v[29:30], v[78:79]
	v_fma_f64 v[47:48], v[37:38], v[43:44], v[47:48]
	v_fma_f64 v[43:44], v[99:100], v[43:44], -v[45:46]
	v_mul_f64 v[45:46], v[39:40], v[51:52]
	v_fma_f64 v[103:104], v[39:40], v[49:50], v[53:54]
	ds_read2st64_b64 v[37:40], v97 offset0:4 offset1:5
	v_fma_f64 v[49:50], v[101:102], v[49:50], -v[45:46]
	ds_read2st64_b64 v[99:102], v97 offset0:6 offset1:7
	s_waitcnt lgkmcnt(1)
	v_mul_f64 v[51:52], v[37:38], v[59:60]
	v_mul_f64 v[45:46], v[33:34], v[59:60]
	;; [unrolled: 1-line block ×4, first 2 shown]
	ds_read_b64 v[59:60], v96
	v_fma_f64 v[51:52], v[33:34], v[57:58], v[51:52]
	v_fma_f64 v[45:46], v[37:38], v[57:58], -v[45:46]
	v_fma_f64 v[37:38], v[35:36], v[61:62], v[53:54]
	v_fma_f64 v[53:54], v[39:40], v[61:62], -v[63:64]
	s_waitcnt lgkmcnt(0)
	v_mul_f64 v[39:40], v[59:60], v[74:75]
	v_mul_f64 v[57:58], v[55:56], v[74:75]
	;; [unrolled: 1-line block ×3, first 2 shown]
	ds_read2st64_b64 v[33:36], v97 offset0:8 offset1:9
	s_waitcnt vmcnt(0)
	v_mul_f64 v[78:79], v[27:28], v[90:91]
	v_fma_f64 v[39:40], v[55:56], v[72:73], v[39:40]
	v_mul_f64 v[55:56], v[101:102], v[82:83]
	v_fma_f64 v[63:64], v[59:60], v[72:73], -v[57:58]
	s_waitcnt lgkmcnt(0)
	v_mul_f64 v[74:75], v[33:34], v[86:87]
	v_fma_f64 v[65:66], v[29:30], v[76:77], v[61:62]
	v_fma_f64 v[59:60], v[99:100], v[76:77], -v[69:70]
	v_mul_f64 v[76:77], v[35:36], v[90:91]
	v_mul_f64 v[57:58], v[25:26], v[86:87]
	;; [unrolled: 1-line block ×3, first 2 shown]
	v_add_f64 v[82:83], v[103:104], -v[37:38]
	v_add_f64 v[90:91], v[49:50], -v[53:54]
	v_fma_f64 v[69:70], v[25:26], v[84:85], v[74:75]
	v_fma_f64 v[25:26], v[31:32], v[80:81], v[55:56]
	v_add_f64 v[31:32], v[51:52], v[65:66]
	v_fma_f64 v[27:28], v[27:28], v[88:89], v[76:77]
	v_fma_f64 v[29:30], v[33:34], v[84:85], -v[57:58]
	v_fma_f64 v[61:62], v[101:102], v[80:81], -v[72:73]
	;; [unrolled: 1-line block ×3, first 2 shown]
	v_add_f64 v[74:75], v[51:52], -v[47:48]
	v_add_f64 v[76:77], v[65:66], -v[69:70]
	v_add_f64 v[72:73], v[47:48], v[69:70]
	v_add_f64 v[78:79], v[39:40], v[103:104]
	v_add_f64 v[84:85], v[27:28], -v[25:26]
	v_add_f64 v[33:34], v[43:44], -v[29:30]
	v_add_f64 v[80:81], v[37:38], v[25:26]
	v_add_f64 v[86:87], v[103:104], v[27:28]
	v_fma_f64 v[31:32], v[31:32], -0.5, v[41:42]
	v_add_f64 v[74:75], v[74:75], v[76:77]
	v_add_f64 v[76:77], v[53:54], -v[49:50]
	v_add_f64 v[35:36], v[47:48], -v[51:52]
	v_add_f64 v[99:100], v[82:83], v[84:85]
	v_add_f64 v[82:83], v[61:62], -v[57:58]
	v_add_f64 v[55:56], v[69:70], -v[65:66]
	v_fma_f64 v[80:81], v[80:81], -0.5, v[39:40]
	v_fma_f64 v[39:40], v[86:87], -0.5, v[39:40]
	v_add_f64 v[86:87], v[45:46], -v[59:60]
	v_add_f64 v[78:79], v[78:79], v[37:38]
	v_fma_f64 v[72:73], v[72:73], -0.5, v[41:42]
	v_add_f64 v[88:89], v[37:38], -v[103:104]
	v_add_f64 v[76:77], v[76:77], v[82:83]
	v_fma_f64 v[82:83], v[33:34], s[10:11], v[31:32]
	v_fma_f64 v[31:32], v[33:34], s[4:5], v[31:32]
	v_add_f64 v[35:36], v[35:36], v[55:56]
	v_add_f64 v[55:56], v[57:58], -v[61:62]
	v_add_f64 v[84:85], v[25:26], -v[27:28]
	;; [unrolled: 1-line block ×3, first 2 shown]
	v_add_f64 v[25:26], v[78:79], v[25:26]
	v_fma_f64 v[78:79], v[86:87], s[4:5], v[72:73]
	v_fma_f64 v[72:73], v[86:87], s[10:11], v[72:73]
	;; [unrolled: 1-line block ×4, first 2 shown]
	v_add_f64 v[86:87], v[53:54], v[61:62]
	v_add_f64 v[55:56], v[90:91], v[55:56]
	;; [unrolled: 1-line block ×4, first 2 shown]
	v_add_f64 v[88:89], v[103:104], -v[27:28]
	v_add_f64 v[25:26], v[25:26], v[27:28]
	v_add_f64 v[101:102], v[49:50], -v[57:58]
	v_fma_f64 v[78:79], v[33:34], s[14:15], v[78:79]
	v_fma_f64 v[86:87], v[86:87], -0.5, v[63:64]
	v_fma_f64 v[33:34], v[33:34], s[6:7], v[72:73]
	v_add_f64 v[103:104], v[53:54], -v[61:62]
	v_fma_f64 v[84:85], v[84:85], -0.5, v[63:64]
	v_add_f64 v[41:42], v[41:42], v[47:48]
	v_fma_f64 v[105:106], v[35:36], s[16:17], v[82:83]
	v_fma_f64 v[31:32], v[35:36], s[16:17], v[31:32]
	;; [unrolled: 1-line block ×16, first 2 shown]
	v_add_f64 v[41:42], v[41:42], v[51:52]
	v_fma_f64 v[35:36], v[103:104], s[14:15], v[35:36]
	v_fma_f64 v[80:81], v[101:102], s[14:15], v[74:75]
	v_fma_f64 v[89:90], v[55:56], s[16:17], v[27:28]
	v_fma_f64 v[27:28], v[103:104], s[6:7], v[78:79]
	v_fma_f64 v[39:40], v[101:102], s[6:7], v[39:40]
	v_fma_f64 v[87:88], v[76:77], s[16:17], v[72:73]
	v_fma_f64 v[85:86], v[76:77], s[16:17], v[84:85]
	v_fma_f64 v[83:84], v[55:56], s[16:17], v[37:38]
	v_add_f64 v[41:42], v[41:42], v[65:66]
	v_fma_f64 v[75:76], v[99:100], s[16:17], v[35:36]
	v_mul_f64 v[35:36], v[89:90], s[14:15]
	v_fma_f64 v[77:78], v[91:92], s[16:17], v[80:81]
	v_fma_f64 v[79:80], v[99:100], s[16:17], v[27:28]
	v_mul_f64 v[37:38], v[87:88], s[10:11]
	v_fma_f64 v[81:82], v[91:92], s[16:17], v[39:40]
	v_mul_f64 v[27:28], v[85:86], s[10:11]
	v_mul_f64 v[39:40], v[83:84], s[14:15]
	v_add_f64 v[41:42], v[41:42], v[69:70]
	v_fma_f64 v[35:36], v[75:76], s[18:19], v[35:36]
	ds_read_b64 v[91:92], v98
	s_waitcnt lgkmcnt(0)
	v_fma_f64 v[37:38], v[77:78], s[16:17], v[37:38]
	s_barrier
	v_fma_f64 v[27:28], v[81:82], s[20:21], v[27:28]
	s_mov_b32 s21, 0xbfe9e377
	s_mov_b32 s20, s18
	v_fma_f64 v[39:40], v[79:80], s[20:21], v[39:40]
	v_add_f64 v[72:73], v[41:42], v[25:26]
	v_add_f64 v[99:100], v[105:106], v[35:36]
	;; [unrolled: 1-line block ×3, first 2 shown]
	v_add_f64 v[41:42], v[41:42], -v[25:26]
	v_add_f64 v[103:104], v[33:34], v[27:28]
	v_add_f64 v[55:56], v[33:34], -v[27:28]
	v_add_f64 v[35:36], v[105:106], -v[35:36]
	v_add_f64 v[27:28], v[31:32], v[39:40]
	v_add_f64 v[37:38], v[107:108], -v[37:38]
	v_add_f64 v[25:26], v[31:32], -v[39:40]
	v_lshrrev_b32_e32 v31, 3, v93
	v_mul_u32_u24_e32 v31, 0x50, v31
	v_or_b32_e32 v0, v31, v0
	v_lshlrev_b32_e32 v0, 3, v0
	v_add3_u32 v0, 0, v0, v71
	ds_write2_b64 v0, v[72:73], v[99:100] offset1:8
	ds_write2_b64 v0, v[101:102], v[103:104] offset0:16 offset1:24
	ds_write2_b64 v0, v[27:28], v[41:42] offset0:32 offset1:40
	;; [unrolled: 1-line block ×4, first 2 shown]
	v_add_u32_e32 v99, 0x400, v97
	v_add_u32_e32 v100, 0x800, v97
	s_waitcnt lgkmcnt(0)
	s_barrier
	ds_read2_b64 v[35:38], v97 offset0:80 offset1:160
	ds_read2_b64 v[31:34], v99 offset0:112 offset1:192
	;; [unrolled: 1-line block ×3, first 2 shown]
	ds_read_b64 v[71:72], v98
	ds_read_b64 v[73:74], v97 offset:4480
	s_and_saveexec_b64 s[20:21], s[0:1]
	s_cbranch_execz .LBB0_21
; %bb.20:
	ds_read2_b64 v[25:28], v97 offset0:144 offset1:224
	ds_read2_b64 v[5:8], v100 offset0:48 offset1:128
	v_add_u32_e32 v1, 0xc00, v97
	ds_read2_b64 v[101:104], v1 offset0:80 offset1:160
	ds_read_b64 v[55:56], v96
	ds_read_b64 v[3:4], v97 offset:4992
	s_waitcnt lgkmcnt(4)
	v_mov_b32_e32 v9, v27
	s_waitcnt lgkmcnt(3)
	v_mov_b32_e32 v12, v6
	v_mov_b32_e32 v11, v5
	;; [unrolled: 1-line block ×4, first 2 shown]
	s_waitcnt lgkmcnt(2)
	v_mov_b32_e32 v1, v103
	v_mov_b32_e32 v7, v101
	;; [unrolled: 1-line block ×5, first 2 shown]
.LBB0_21:
	s_or_b64 exec, exec, s[20:21]
	v_add_f64 v[27:28], v[45:46], v[59:60]
	v_add_f64 v[101:102], v[43:44], v[29:30]
	;; [unrolled: 1-line block ×3, first 2 shown]
	v_add_f64 v[47:48], v[47:48], -v[69:70]
	v_add_f64 v[51:52], v[51:52], -v[65:66]
	v_add_f64 v[49:50], v[63:64], v[49:50]
	v_add_f64 v[65:66], v[43:44], -v[45:46]
	v_add_f64 v[69:70], v[29:30], -v[59:60]
	v_fma_f64 v[27:28], v[27:28], -0.5, v[91:92]
	v_fma_f64 v[91:92], v[101:102], -0.5, v[91:92]
	v_add_f64 v[43:44], v[45:46], -v[43:44]
	v_add_f64 v[101:102], v[59:60], -v[29:30]
	v_mul_f64 v[63:64], v[89:90], s[18:19]
	v_add_f64 v[45:46], v[103:104], v[45:46]
	v_add_f64 v[49:50], v[49:50], v[53:54]
	v_add_f64 v[53:54], v[65:66], v[69:70]
	v_fma_f64 v[89:90], v[47:48], s[4:5], v[27:28]
	v_fma_f64 v[27:28], v[47:48], s[10:11], v[27:28]
	;; [unrolled: 1-line block ×4, first 2 shown]
	v_add_f64 v[43:44], v[43:44], v[101:102]
	v_add_f64 v[45:46], v[45:46], v[59:60]
	;; [unrolled: 1-line block ×3, first 2 shown]
	v_mul_f64 v[87:88], v[87:88], s[16:17]
	v_fma_f64 v[59:60], v[51:52], s[6:7], v[89:90]
	v_fma_f64 v[27:28], v[51:52], s[14:15], v[27:28]
	;; [unrolled: 1-line block ×4, first 2 shown]
	v_mul_f64 v[61:62], v[85:86], s[16:17]
	v_mul_f64 v[65:66], v[83:84], s[18:19]
	v_add_f64 v[29:30], v[45:46], v[29:30]
	s_waitcnt lgkmcnt(0)
	v_fma_f64 v[45:46], v[53:54], s[16:17], v[59:60]
	v_fma_f64 v[27:28], v[53:54], s[16:17], v[27:28]
	;; [unrolled: 1-line block ×4, first 2 shown]
	v_add_f64 v[47:48], v[49:50], v[57:58]
	v_fma_f64 v[49:50], v[75:76], s[6:7], v[63:64]
	v_fma_f64 v[53:54], v[77:78], s[4:5], v[87:88]
	v_fma_f64 v[57:58], v[81:82], s[4:5], -v[61:62]
	v_fma_f64 v[59:60], v[79:80], s[6:7], -v[65:66]
	s_barrier
	v_add_f64 v[61:62], v[29:30], v[47:48]
	v_add_f64 v[63:64], v[45:46], v[49:50]
	;; [unrolled: 1-line block ×5, first 2 shown]
	v_add_f64 v[29:30], v[29:30], -v[47:48]
	v_add_f64 v[45:46], v[45:46], -v[49:50]
	;; [unrolled: 1-line block ×5, first 2 shown]
	ds_write2_b64 v0, v[61:62], v[63:64] offset1:8
	ds_write2_b64 v0, v[65:66], v[69:70] offset0:16 offset1:24
	ds_write2_b64 v0, v[75:76], v[29:30] offset0:32 offset1:40
	;; [unrolled: 1-line block ×4, first 2 shown]
	s_waitcnt lgkmcnt(0)
	s_barrier
	ds_read2_b64 v[43:46], v97 offset0:80 offset1:160
	ds_read2_b64 v[51:54], v99 offset0:112 offset1:192
	;; [unrolled: 1-line block ×3, first 2 shown]
	ds_read_b64 v[59:60], v98
	ds_read_b64 v[61:62], v97 offset:4480
	s_and_saveexec_b64 s[4:5], s[0:1]
	s_cbranch_execz .LBB0_23
; %bb.22:
	v_add_u32_e32 v0, 0x800, v97
	ds_read2_b64 v[17:20], v0 offset0:48 offset1:128
	ds_read2_b64 v[27:30], v97 offset0:144 offset1:224
	v_add_u32_e32 v0, 0xc00, v97
	ds_read2_b64 v[63:66], v0 offset0:80 offset1:160
	ds_read_b64 v[57:58], v96
	ds_read_b64 v[15:16], v97 offset:4992
	s_waitcnt lgkmcnt(4)
	v_mov_b32_e32 v24, v18
	v_mov_b32_e32 v23, v17
	;; [unrolled: 1-line block ×4, first 2 shown]
	s_waitcnt lgkmcnt(2)
	v_mov_b32_e32 v13, v65
	v_mov_b32_e32 v19, v63
	;; [unrolled: 1-line block ×6, first 2 shown]
.LBB0_23:
	s_or_b64 exec, exec, s[4:5]
	s_and_saveexec_b64 s[0:1], vcc
	s_cbranch_execz .LBB0_26
; %bb.24:
	v_mul_u32_u24_e32 v0, 7, v93
	v_lshlrev_b32_e32 v0, 4, v0
	global_load_dwordx4 v[63:66], v0, s[8:9] offset:1200
	global_load_dwordx4 v[75:78], v0, s[8:9] offset:1168
	;; [unrolled: 1-line block ×7, first 2 shown]
	v_mad_u64_u32 v[69:70], s[6:7], s2, v93, 0
	v_mov_b32_e32 v29, s13
	v_add_u32_e32 v108, 0x50, v93
	v_add_co_u32_e32 v0, vcc, s12, v67
	v_add_u32_e32 v109, 0xa0, v93
	v_addc_co_u32_e32 v29, vcc, v29, v68, vcc
	v_mad_u64_u32 v[67:68], s[10:11], s2, v108, 0
	v_add_u32_e32 v110, 0xf0, v93
	v_mad_u64_u32 v[91:92], s[10:11], s2, v109, 0
	v_mad_u64_u32 v[104:105], s[10:11], s2, v110, 0
	v_mov_b32_e32 v30, v70
	v_mad_u64_u32 v[106:107], s[10:11], s3, v93, v[30:31]
	v_mov_b32_e32 v30, v68
	v_mov_b32_e32 v68, v92
	v_mad_u64_u32 v[107:108], s[10:11], s3, v108, v[30:31]
	v_mov_b32_e32 v70, v105
	v_mad_u64_u32 v[108:109], s[10:11], s3, v109, v[68:69]
	v_mad_u64_u32 v[109:110], s[10:11], s3, v110, v[70:71]
	v_mov_b32_e32 v70, v106
	v_mov_b32_e32 v68, v107
	v_mov_b32_e32 v92, v108
	v_mov_b32_e32 v105, v109
	s_mov_b32 s0, 0x667f3bcd
	s_mov_b32 s1, 0x3fe6a09e
	;; [unrolled: 1-line block ×4, first 2 shown]
	v_lshlrev_b64 v[69:70], 4, v[69:70]
	v_lshlrev_b64 v[67:68], 4, v[67:68]
	v_add_co_u32_e32 v69, vcc, v0, v69
	v_addc_co_u32_e32 v70, vcc, v29, v70, vcc
	v_lshlrev_b64 v[91:92], 4, v[91:92]
	v_add_co_u32_e32 v67, vcc, v0, v67
	v_addc_co_u32_e32 v68, vcc, v29, v68, vcc
	v_or_b32_e32 v120, 0x140, v93
	v_lshlrev_b64 v[104:105], 4, v[104:105]
	s_movk_i32 s6, 0x50
	s_waitcnt vmcnt(6)
	v_mul_f64 v[106:107], v[33:34], v[65:66]
	s_waitcnt vmcnt(5)
	v_mul_f64 v[108:109], v[37:38], v[75:76]
	;; [unrolled: 2-line block ×7, first 2 shown]
	s_waitcnt lgkmcnt(4)
	v_mul_f64 v[85:86], v[43:44], v[85:86]
	s_waitcnt lgkmcnt(2)
	v_mul_f64 v[89:90], v[47:48], v[89:90]
	v_mul_f64 v[30:31], v[31:32], v[98:99]
	;; [unrolled: 1-line block ×6, first 2 shown]
	v_fma_f64 v[53:54], v[53:54], v[63:64], -v[106:107]
	v_fma_f64 v[77:78], v[45:46], v[77:78], v[108:109]
	v_fma_f64 v[81:82], v[49:50], v[81:82], v[110:111]
	v_fma_f64 v[43:44], v[43:44], v[83:84], -v[112:113]
	v_fma_f64 v[47:48], v[47:48], v[87:88], -v[114:115]
	v_fma_f64 v[98:99], v[51:52], v[98:99], v[116:117]
	s_waitcnt lgkmcnt(0)
	v_fma_f64 v[102:103], v[61:62], v[102:103], v[118:119]
	v_fma_f64 v[35:36], v[35:36], v[83:84], v[85:86]
	;; [unrolled: 1-line block ×3, first 2 shown]
	v_fma_f64 v[30:31], v[51:52], v[96:97], -v[30:31]
	v_fma_f64 v[51:52], v[61:62], v[100:101], -v[73:74]
	;; [unrolled: 1-line block ×4, first 2 shown]
	v_fma_f64 v[32:33], v[33:34], v[63:64], v[65:66]
	v_add_f64 v[45:46], v[59:60], -v[53:54]
	v_add_f64 v[49:50], v[77:78], -v[81:82]
	;; [unrolled: 1-line block ×8, first 2 shown]
	v_fma_f64 v[59:60], v[59:60], 2.0, -v[45:46]
	v_add_f64 v[63:64], v[45:46], -v[49:50]
	v_fma_f64 v[34:35], v[35:36], 2.0, -v[39:40]
	v_fma_f64 v[61:62], v[98:99], 2.0, -v[53:54]
	;; [unrolled: 1-line block ×3, first 2 shown]
	v_add_f64 v[53:54], v[47:48], -v[53:54]
	v_fma_f64 v[37:38], v[37:38], 2.0, -v[41:42]
	v_fma_f64 v[65:66], v[71:72], 2.0, -v[32:33]
	;; [unrolled: 1-line block ×4, first 2 shown]
	v_add_f64 v[51:52], v[39:40], v[51:52]
	v_add_f64 v[71:72], v[32:33], v[41:42]
	v_fma_f64 v[75:76], v[45:46], 2.0, -v[63:64]
	v_fma_f64 v[45:46], v[47:48], 2.0, -v[53:54]
	v_add_f64 v[73:74], v[59:60], -v[37:38]
	v_add_f64 v[36:37], v[34:35], -v[61:62]
	;; [unrolled: 1-line block ×4, first 2 shown]
	v_fma_f64 v[38:39], v[39:40], 2.0, -v[51:52]
	v_fma_f64 v[77:78], v[32:33], 2.0, -v[71:72]
	v_fma_f64 v[49:50], v[53:54], s[0:1], v[63:64]
	v_fma_f64 v[40:41], v[45:46], s[4:5], v[75:76]
	v_fma_f64 v[59:60], v[59:60], 2.0, -v[73:74]
	v_fma_f64 v[34:35], v[34:35], 2.0, -v[36:37]
	;; [unrolled: 1-line block ×4, first 2 shown]
	v_add_f64 v[32:33], v[73:74], -v[36:37]
	v_fma_f64 v[47:48], v[38:39], s[4:5], v[77:78]
	v_add_f64 v[30:31], v[61:62], v[30:31]
	v_fma_f64 v[36:37], v[38:39], s[4:5], v[40:41]
	v_fma_f64 v[79:80], v[51:52], s[0:1], v[71:72]
	v_add_f64 v[38:39], v[65:66], -v[34:35]
	v_add_f64 v[40:41], v[59:60], -v[42:43]
	v_fma_f64 v[34:35], v[45:46], s[0:1], v[47:48]
	v_fma_f64 v[46:47], v[61:62], 2.0, -v[30:31]
	v_fma_f64 v[44:45], v[51:52], s[4:5], v[49:50]
	v_fma_f64 v[42:43], v[53:54], s[0:1], v[79:80]
	v_fma_f64 v[52:53], v[75:76], 2.0, -v[36:37]
	v_fma_f64 v[48:49], v[73:74], 2.0, -v[32:33]
	;; [unrolled: 1-line block ×5, first 2 shown]
	v_add_co_u32_e32 v73, vcc, v0, v91
	v_addc_co_u32_e32 v74, vcc, v29, v92, vcc
	global_store_dwordx4 v[69:70], v[59:62], off
	global_store_dwordx4 v[67:68], v[50:53], off
	;; [unrolled: 1-line block ×3, first 2 shown]
	s_nop 0
	v_mad_u64_u32 v[46:47], s[10:11], s2, v120, 0
	v_add_co_u32_e32 v48, vcc, v0, v104
	v_mad_u64_u32 v[50:51], s[10:11], s3, v120, v[47:48]
	v_fma_f64 v[65:66], v[63:64], 2.0, -v[44:45]
	v_fma_f64 v[63:64], v[71:72], 2.0, -v[42:43]
	v_add_u32_e32 v53, 0x190, v93
	v_mov_b32_e32 v47, v50
	v_mad_u64_u32 v[51:52], s[10:11], s2, v53, 0
	v_lshlrev_b64 v[46:47], 4, v[46:47]
	v_addc_co_u32_e32 v49, vcc, v29, v105, vcc
	v_add_co_u32_e32 v46, vcc, v0, v46
	v_addc_co_u32_e32 v47, vcc, v29, v47, vcc
	global_store_dwordx4 v[48:49], v[63:66], off
	v_mov_b32_e32 v48, v52
	global_store_dwordx4 v[46:47], v[38:41], off
	v_add_u32_e32 v46, 0x1e0, v93
	v_mad_u64_u32 v[48:49], s[10:11], s3, v53, v[48:49]
	v_mad_u64_u32 v[40:41], s[10:11], s2, v46, 0
	v_mov_b32_e32 v52, v48
	v_add_u32_e32 v49, 0x230, v93
	v_mad_u64_u32 v[46:47], s[10:11], s3, v46, v[41:42]
	v_lshlrev_b64 v[38:39], 4, v[51:52]
	v_mad_u64_u32 v[47:48], s[10:11], s2, v49, 0
	v_add_co_u32_e32 v38, vcc, v0, v38
	v_addc_co_u32_e32 v39, vcc, v29, v39, vcc
	global_store_dwordx4 v[38:39], v[34:37], off
	v_mov_b32_e32 v41, v46
	v_mov_b32_e32 v36, v48
	v_mad_u64_u32 v[36:37], s[10:11], s3, v49, v[36:37]
	v_lshlrev_b64 v[34:35], 4, v[40:41]
	v_add_co_u32_e32 v34, vcc, v0, v34
	v_addc_co_u32_e32 v35, vcc, v29, v35, vcc
	v_mov_b32_e32 v48, v36
	global_store_dwordx4 v[34:35], v[30:33], off
	s_nop 0
	v_lshlrev_b64 v[30:31], 4, v[47:48]
	v_add_co_u32_e32 v30, vcc, v0, v30
	v_addc_co_u32_e32 v31, vcc, v29, v31, vcc
	v_cmp_gt_u32_e32 vcc, s6, v94
	global_store_dwordx4 v[30:31], v[42:45], off
	s_and_b64 exec, exec, vcc
	s_cbranch_execz .LBB0_26
; %bb.25:
	v_add_u32_e32 v30, -16, v93
	v_cmp_gt_u32_e32 vcc, s6, v95
	v_cndmask_b32_e32 v30, v30, v95, vcc
	v_mul_i32_i24_e32 v30, 7, v30
	v_mov_b32_e32 v31, 0
	v_lshlrev_b64 v[30:31], 4, v[30:31]
	v_mov_b32_e32 v32, s9
	v_add_co_u32_e32 v63, vcc, s8, v30
	v_addc_co_u32_e32 v64, vcc, v32, v31, vcc
	global_load_dwordx4 v[30:33], v[63:64], off offset:1152
	global_load_dwordx4 v[34:37], v[63:64], off offset:1168
	;; [unrolled: 1-line block ×7, first 2 shown]
	v_mad_u64_u32 v[63:64], s[6:7], s2, v94, 0
	v_add_u32_e32 v75, 0x90, v93
	v_add_u32_e32 v76, 0xe0, v93
	v_mad_u64_u32 v[65:66], s[6:7], s2, v75, 0
	v_add_u32_e32 v77, 0x130, v93
	v_mad_u64_u32 v[67:68], s[6:7], s2, v76, 0
	v_mad_u64_u32 v[69:70], s[6:7], s2, v77, 0
	v_mov_b32_e32 v54, v64
	v_mad_u64_u32 v[73:74], s[6:7], s3, v94, v[54:55]
	v_mov_b32_e32 v54, v66
	v_mov_b32_e32 v64, v68
	v_mad_u64_u32 v[74:75], s[6:7], s3, v75, v[54:55]
	v_mov_b32_e32 v66, v70
	v_mad_u64_u32 v[75:76], s[6:7], s3, v76, v[64:65]
	v_mad_u64_u32 v[76:77], s[6:7], s3, v77, v[66:67]
	v_mov_b32_e32 v64, v73
	v_mov_b32_e32 v66, v74
	;; [unrolled: 1-line block ×4, first 2 shown]
	v_lshlrev_b64 v[63:64], 4, v[63:64]
	v_or_b32_e32 v87, 0x180, v93
	v_lshlrev_b64 v[65:66], 4, v[65:66]
	v_add_co_u32_e32 v63, vcc, v0, v63
	v_mad_u64_u32 v[71:72], s[6:7], s2, v87, 0
	v_addc_co_u32_e32 v64, vcc, v29, v64, vcc
	v_lshlrev_b64 v[67:68], 4, v[67:68]
	v_add_co_u32_e32 v65, vcc, v0, v65
	v_addc_co_u32_e32 v66, vcc, v29, v66, vcc
	v_lshlrev_b64 v[69:70], 4, v[69:70]
	s_waitcnt vmcnt(6)
	v_mul_f64 v[73:74], v[27:28], v[32:33]
	v_mul_f64 v[32:33], v[25:26], v[32:33]
	s_waitcnt vmcnt(5)
	v_mul_f64 v[75:76], v[21:22], v[36:37]
	v_mul_f64 v[36:37], v[9:10], v[36:37]
	;; [unrolled: 3-line block ×7, first 2 shown]
	v_fma_f64 v[25:26], v[25:26], v[30:31], v[73:74]
	v_fma_f64 v[27:28], v[27:28], v[30:31], -v[32:33]
	v_fma_f64 v[9:10], v[9:10], v[34:35], v[75:76]
	v_fma_f64 v[21:22], v[21:22], v[34:35], -v[36:37]
	;; [unrolled: 2-line block ×7, first 2 shown]
	v_add_f64 v[5:6], v[55:56], -v[5:6]
	v_add_f64 v[17:18], v[57:58], -v[17:18]
	;; [unrolled: 1-line block ×8, first 2 shown]
	v_fma_f64 v[30:31], v[55:56], 2.0, -v[5:6]
	v_fma_f64 v[32:33], v[57:58], 2.0, -v[17:18]
	;; [unrolled: 1-line block ×6, first 2 shown]
	v_add_f64 v[36:37], v[17:18], -v[1:2]
	v_fma_f64 v[1:2], v[11:12], 2.0, -v[3:4]
	v_fma_f64 v[11:12], v[23:24], 2.0, -v[15:16]
	v_add_f64 v[34:35], v[5:6], v[13:14]
	v_add_f64 v[15:16], v[7:8], v[15:16]
	v_add_f64 v[13:14], v[19:20], -v[3:4]
	v_add_f64 v[23:24], v[30:31], -v[9:10]
	;; [unrolled: 1-line block ×3, first 2 shown]
	v_fma_f64 v[40:41], v[17:18], 2.0, -v[36:37]
	v_add_f64 v[3:4], v[25:26], -v[1:2]
	v_add_f64 v[1:2], v[27:28], -v[11:12]
	v_fma_f64 v[38:39], v[5:6], 2.0, -v[34:35]
	v_fma_f64 v[11:12], v[7:8], 2.0, -v[15:16]
	;; [unrolled: 1-line block ×5, first 2 shown]
	v_add_co_u32_e32 v42, vcc, v0, v67
	v_fma_f64 v[5:6], v[25:26], 2.0, -v[3:4]
	v_fma_f64 v[7:8], v[27:28], 2.0, -v[1:2]
	v_fma_f64 v[17:18], v[11:12], s[4:5], v[38:39]
	v_fma_f64 v[19:20], v[9:10], s[4:5], v[40:41]
	v_add_f64 v[1:2], v[23:24], v[1:2]
	v_add_f64 v[3:4], v[21:22], -v[3:4]
	v_fma_f64 v[25:26], v[15:16], s[0:1], v[34:35]
	v_fma_f64 v[27:28], v[13:14], s[0:1], v[36:37]
	v_add_f64 v[5:6], v[30:31], -v[5:6]
	v_add_f64 v[7:8], v[32:33], -v[7:8]
	v_fma_f64 v[9:10], v[9:10], s[0:1], v[17:18]
	v_fma_f64 v[11:12], v[11:12], s[4:5], v[19:20]
	v_fma_f64 v[17:18], v[23:24], 2.0, -v[1:2]
	v_fma_f64 v[19:20], v[21:22], 2.0, -v[3:4]
	v_fma_f64 v[13:14], v[13:14], s[0:1], v[25:26]
	v_fma_f64 v[15:16], v[15:16], s[4:5], v[27:28]
	v_fma_f64 v[21:22], v[30:31], 2.0, -v[5:6]
	v_fma_f64 v[23:24], v[32:33], 2.0, -v[7:8]
	;; [unrolled: 1-line block ×4, first 2 shown]
	v_addc_co_u32_e32 v43, vcc, v29, v68, vcc
	global_store_dwordx4 v[63:64], v[21:24], off
	global_store_dwordx4 v[65:66], v[25:28], off
	;; [unrolled: 1-line block ×3, first 2 shown]
	s_nop 0
	v_mov_b32_e32 v17, v72
	v_mad_u64_u32 v[17:18], s[0:1], s3, v87, v[17:18]
	v_fma_f64 v[30:31], v[34:35], 2.0, -v[13:14]
	v_fma_f64 v[32:33], v[36:37], 2.0, -v[15:16]
	v_add_u32_e32 v22, 0x1d0, v93
	v_mad_u64_u32 v[18:19], s[0:1], s2, v22, 0
	v_mov_b32_e32 v72, v17
	v_add_co_u32_e32 v38, vcc, v0, v69
	v_lshlrev_b64 v[20:21], 4, v[71:72]
	v_addc_co_u32_e32 v39, vcc, v29, v70, vcc
	v_mov_b32_e32 v17, v19
	v_add_co_u32_e32 v19, vcc, v0, v20
	v_mad_u64_u32 v[22:23], s[0:1], s3, v22, v[17:18]
	v_addc_co_u32_e32 v20, vcc, v29, v21, vcc
	v_add_u32_e32 v17, 0x220, v93
	global_store_dwordx4 v[38:39], v[30:33], off
	global_store_dwordx4 v[19:20], v[5:8], off
	v_mov_b32_e32 v19, v22
	v_mad_u64_u32 v[7:8], s[0:1], s2, v17, 0
	v_lshlrev_b64 v[5:6], 4, v[18:19]
	v_add_u32_e32 v20, 0x270, v93
	v_mad_u64_u32 v[17:18], s[0:1], s3, v17, v[8:9]
	v_mad_u64_u32 v[18:19], s[0:1], s2, v20, 0
	v_add_co_u32_e32 v5, vcc, v0, v5
	v_addc_co_u32_e32 v6, vcc, v29, v6, vcc
	v_mov_b32_e32 v8, v17
	global_store_dwordx4 v[5:6], v[9:12], off
	v_lshlrev_b64 v[5:6], 4, v[7:8]
	v_mov_b32_e32 v7, v19
	v_mad_u64_u32 v[7:8], s[0:1], s3, v20, v[7:8]
	v_add_co_u32_e32 v5, vcc, v0, v5
	v_addc_co_u32_e32 v6, vcc, v29, v6, vcc
	v_mov_b32_e32 v19, v7
	global_store_dwordx4 v[5:6], v[1:4], off
	s_nop 0
	v_lshlrev_b64 v[1:2], 4, v[18:19]
	v_add_co_u32_e32 v0, vcc, v0, v1
	v_addc_co_u32_e32 v1, vcc, v29, v2, vcc
	global_store_dwordx4 v[0:1], v[13:16], off
.LBB0_26:
	s_endpgm
	.section	.rodata,"a",@progbits
	.p2align	6, 0x0
	.amdhsa_kernel fft_rtc_back_len640_factors_8_10_8_wgs_128_tpt_64_halfLds_dp_ip_CI_sbrr_dirReg
		.amdhsa_group_segment_fixed_size 0
		.amdhsa_private_segment_fixed_size 0
		.amdhsa_kernarg_size 88
		.amdhsa_user_sgpr_count 6
		.amdhsa_user_sgpr_private_segment_buffer 1
		.amdhsa_user_sgpr_dispatch_ptr 0
		.amdhsa_user_sgpr_queue_ptr 0
		.amdhsa_user_sgpr_kernarg_segment_ptr 1
		.amdhsa_user_sgpr_dispatch_id 0
		.amdhsa_user_sgpr_flat_scratch_init 0
		.amdhsa_user_sgpr_private_segment_size 0
		.amdhsa_uses_dynamic_stack 0
		.amdhsa_system_sgpr_private_segment_wavefront_offset 0
		.amdhsa_system_sgpr_workgroup_id_x 1
		.amdhsa_system_sgpr_workgroup_id_y 0
		.amdhsa_system_sgpr_workgroup_id_z 0
		.amdhsa_system_sgpr_workgroup_info 0
		.amdhsa_system_vgpr_workitem_id 0
		.amdhsa_next_free_vgpr 121
		.amdhsa_next_free_sgpr 24
		.amdhsa_reserve_vcc 1
		.amdhsa_reserve_flat_scratch 0
		.amdhsa_float_round_mode_32 0
		.amdhsa_float_round_mode_16_64 0
		.amdhsa_float_denorm_mode_32 3
		.amdhsa_float_denorm_mode_16_64 3
		.amdhsa_dx10_clamp 1
		.amdhsa_ieee_mode 1
		.amdhsa_fp16_overflow 0
		.amdhsa_exception_fp_ieee_invalid_op 0
		.amdhsa_exception_fp_denorm_src 0
		.amdhsa_exception_fp_ieee_div_zero 0
		.amdhsa_exception_fp_ieee_overflow 0
		.amdhsa_exception_fp_ieee_underflow 0
		.amdhsa_exception_fp_ieee_inexact 0
		.amdhsa_exception_int_div_zero 0
	.end_amdhsa_kernel
	.text
.Lfunc_end0:
	.size	fft_rtc_back_len640_factors_8_10_8_wgs_128_tpt_64_halfLds_dp_ip_CI_sbrr_dirReg, .Lfunc_end0-fft_rtc_back_len640_factors_8_10_8_wgs_128_tpt_64_halfLds_dp_ip_CI_sbrr_dirReg
                                        ; -- End function
	.section	.AMDGPU.csdata,"",@progbits
; Kernel info:
; codeLenInByte = 8112
; NumSgprs: 28
; NumVgprs: 121
; ScratchSize: 0
; MemoryBound: 1
; FloatMode: 240
; IeeeMode: 1
; LDSByteSize: 0 bytes/workgroup (compile time only)
; SGPRBlocks: 3
; VGPRBlocks: 30
; NumSGPRsForWavesPerEU: 28
; NumVGPRsForWavesPerEU: 121
; Occupancy: 2
; WaveLimiterHint : 1
; COMPUTE_PGM_RSRC2:SCRATCH_EN: 0
; COMPUTE_PGM_RSRC2:USER_SGPR: 6
; COMPUTE_PGM_RSRC2:TRAP_HANDLER: 0
; COMPUTE_PGM_RSRC2:TGID_X_EN: 1
; COMPUTE_PGM_RSRC2:TGID_Y_EN: 0
; COMPUTE_PGM_RSRC2:TGID_Z_EN: 0
; COMPUTE_PGM_RSRC2:TIDIG_COMP_CNT: 0
	.type	__hip_cuid_67b856c3bba68fe1,@object ; @__hip_cuid_67b856c3bba68fe1
	.section	.bss,"aw",@nobits
	.globl	__hip_cuid_67b856c3bba68fe1
__hip_cuid_67b856c3bba68fe1:
	.byte	0                               ; 0x0
	.size	__hip_cuid_67b856c3bba68fe1, 1

	.ident	"AMD clang version 19.0.0git (https://github.com/RadeonOpenCompute/llvm-project roc-6.4.0 25133 c7fe45cf4b819c5991fe208aaa96edf142730f1d)"
	.section	".note.GNU-stack","",@progbits
	.addrsig
	.addrsig_sym __hip_cuid_67b856c3bba68fe1
	.amdgpu_metadata
---
amdhsa.kernels:
  - .args:
      - .actual_access:  read_only
        .address_space:  global
        .offset:         0
        .size:           8
        .value_kind:     global_buffer
      - .offset:         8
        .size:           8
        .value_kind:     by_value
      - .actual_access:  read_only
        .address_space:  global
        .offset:         16
        .size:           8
        .value_kind:     global_buffer
      - .actual_access:  read_only
        .address_space:  global
        .offset:         24
        .size:           8
        .value_kind:     global_buffer
      - .offset:         32
        .size:           8
        .value_kind:     by_value
      - .actual_access:  read_only
        .address_space:  global
        .offset:         40
        .size:           8
        .value_kind:     global_buffer
      - .actual_access:  read_only
        .address_space:  global
        .offset:         48
        .size:           8
        .value_kind:     global_buffer
      - .offset:         56
        .size:           4
        .value_kind:     by_value
      - .actual_access:  read_only
        .address_space:  global
        .offset:         64
        .size:           8
        .value_kind:     global_buffer
      - .actual_access:  read_only
        .address_space:  global
        .offset:         72
        .size:           8
        .value_kind:     global_buffer
      - .address_space:  global
        .offset:         80
        .size:           8
        .value_kind:     global_buffer
    .group_segment_fixed_size: 0
    .kernarg_segment_align: 8
    .kernarg_segment_size: 88
    .language:       OpenCL C
    .language_version:
      - 2
      - 0
    .max_flat_workgroup_size: 128
    .name:           fft_rtc_back_len640_factors_8_10_8_wgs_128_tpt_64_halfLds_dp_ip_CI_sbrr_dirReg
    .private_segment_fixed_size: 0
    .sgpr_count:     28
    .sgpr_spill_count: 0
    .symbol:         fft_rtc_back_len640_factors_8_10_8_wgs_128_tpt_64_halfLds_dp_ip_CI_sbrr_dirReg.kd
    .uniform_work_group_size: 1
    .uses_dynamic_stack: false
    .vgpr_count:     121
    .vgpr_spill_count: 0
    .wavefront_size: 64
amdhsa.target:   amdgcn-amd-amdhsa--gfx906
amdhsa.version:
  - 1
  - 2
...

	.end_amdgpu_metadata
